;; amdgpu-corpus repo=ROCm/rocFFT kind=compiled arch=gfx1030 opt=O3
	.text
	.amdgcn_target "amdgcn-amd-amdhsa--gfx1030"
	.amdhsa_code_object_version 6
	.protected	fft_rtc_back_len1600_factors_10_16_10_wgs_200_tpt_100_halfLds_half_op_CI_CI_unitstride_sbrr_C2R_dirReg ; -- Begin function fft_rtc_back_len1600_factors_10_16_10_wgs_200_tpt_100_halfLds_half_op_CI_CI_unitstride_sbrr_C2R_dirReg
	.globl	fft_rtc_back_len1600_factors_10_16_10_wgs_200_tpt_100_halfLds_half_op_CI_CI_unitstride_sbrr_C2R_dirReg
	.p2align	8
	.type	fft_rtc_back_len1600_factors_10_16_10_wgs_200_tpt_100_halfLds_half_op_CI_CI_unitstride_sbrr_C2R_dirReg,@function
fft_rtc_back_len1600_factors_10_16_10_wgs_200_tpt_100_halfLds_half_op_CI_CI_unitstride_sbrr_C2R_dirReg: ; @fft_rtc_back_len1600_factors_10_16_10_wgs_200_tpt_100_halfLds_half_op_CI_CI_unitstride_sbrr_C2R_dirReg
; %bb.0:
	s_clause 0x2
	s_load_dwordx4 s[12:15], s[4:5], 0x0
	s_load_dwordx4 s[8:11], s[4:5], 0x58
	;; [unrolled: 1-line block ×3, first 2 shown]
	v_mul_u32_u24_e32 v1, 0x290, v0
	v_mov_b32_e32 v3, 0
	v_mov_b32_e32 v7, 0
	;; [unrolled: 1-line block ×3, first 2 shown]
	v_lshrrev_b32_e32 v11, 16, v1
	v_mov_b32_e32 v10, v3
	v_lshl_add_u32 v9, s6, 1, v11
	s_waitcnt lgkmcnt(0)
	v_cmp_lt_u64_e64 s0, s[14:15], 2
	s_and_b32 vcc_lo, exec_lo, s0
	s_cbranch_vccnz .LBB0_8
; %bb.1:
	s_load_dwordx2 s[0:1], s[4:5], 0x10
	v_mov_b32_e32 v7, 0
	v_mov_b32_e32 v8, 0
	s_add_u32 s2, s18, 8
	s_addc_u32 s3, s19, 0
	v_mov_b32_e32 v1, v7
	s_add_u32 s6, s16, 8
	v_mov_b32_e32 v2, v8
	s_addc_u32 s7, s17, 0
	s_mov_b64 s[22:23], 1
	s_waitcnt lgkmcnt(0)
	s_add_u32 s20, s0, 8
	s_addc_u32 s21, s1, 0
.LBB0_2:                                ; =>This Inner Loop Header: Depth=1
	s_load_dwordx2 s[24:25], s[20:21], 0x0
                                        ; implicit-def: $vgpr5_vgpr6
	s_mov_b32 s0, exec_lo
	s_waitcnt lgkmcnt(0)
	v_or_b32_e32 v4, s25, v10
	v_cmpx_ne_u64_e32 0, v[3:4]
	s_xor_b32 s1, exec_lo, s0
	s_cbranch_execz .LBB0_4
; %bb.3:                                ;   in Loop: Header=BB0_2 Depth=1
	v_cvt_f32_u32_e32 v4, s24
	v_cvt_f32_u32_e32 v5, s25
	s_sub_u32 s0, 0, s24
	s_subb_u32 s26, 0, s25
	v_fmac_f32_e32 v4, 0x4f800000, v5
	v_rcp_f32_e32 v4, v4
	v_mul_f32_e32 v4, 0x5f7ffffc, v4
	v_mul_f32_e32 v5, 0x2f800000, v4
	v_trunc_f32_e32 v5, v5
	v_fmac_f32_e32 v4, 0xcf800000, v5
	v_cvt_u32_f32_e32 v5, v5
	v_cvt_u32_f32_e32 v4, v4
	v_mul_lo_u32 v6, s0, v5
	v_mul_hi_u32 v12, s0, v4
	v_mul_lo_u32 v13, s26, v4
	v_add_nc_u32_e32 v6, v12, v6
	v_mul_lo_u32 v12, s0, v4
	v_add_nc_u32_e32 v6, v6, v13
	v_mul_hi_u32 v13, v4, v12
	v_mul_lo_u32 v14, v4, v6
	v_mul_hi_u32 v15, v4, v6
	v_mul_hi_u32 v16, v5, v12
	v_mul_lo_u32 v12, v5, v12
	v_mul_hi_u32 v17, v5, v6
	v_mul_lo_u32 v6, v5, v6
	v_add_co_u32 v13, vcc_lo, v13, v14
	v_add_co_ci_u32_e32 v14, vcc_lo, 0, v15, vcc_lo
	v_add_co_u32 v12, vcc_lo, v13, v12
	v_add_co_ci_u32_e32 v12, vcc_lo, v14, v16, vcc_lo
	v_add_co_ci_u32_e32 v13, vcc_lo, 0, v17, vcc_lo
	v_add_co_u32 v6, vcc_lo, v12, v6
	v_add_co_ci_u32_e32 v12, vcc_lo, 0, v13, vcc_lo
	v_add_co_u32 v4, vcc_lo, v4, v6
	v_add_co_ci_u32_e32 v5, vcc_lo, v5, v12, vcc_lo
	v_mul_hi_u32 v6, s0, v4
	v_mul_lo_u32 v13, s26, v4
	v_mul_lo_u32 v12, s0, v5
	v_add_nc_u32_e32 v6, v6, v12
	v_mul_lo_u32 v12, s0, v4
	v_add_nc_u32_e32 v6, v6, v13
	v_mul_hi_u32 v13, v4, v12
	v_mul_lo_u32 v14, v4, v6
	v_mul_hi_u32 v15, v4, v6
	v_mul_hi_u32 v16, v5, v12
	v_mul_lo_u32 v12, v5, v12
	v_mul_hi_u32 v17, v5, v6
	v_mul_lo_u32 v6, v5, v6
	v_add_co_u32 v13, vcc_lo, v13, v14
	v_add_co_ci_u32_e32 v14, vcc_lo, 0, v15, vcc_lo
	v_add_co_u32 v12, vcc_lo, v13, v12
	v_add_co_ci_u32_e32 v12, vcc_lo, v14, v16, vcc_lo
	v_add_co_ci_u32_e32 v13, vcc_lo, 0, v17, vcc_lo
	v_add_co_u32 v6, vcc_lo, v12, v6
	v_add_co_ci_u32_e32 v12, vcc_lo, 0, v13, vcc_lo
	v_add_co_u32 v6, vcc_lo, v4, v6
	v_add_co_ci_u32_e32 v14, vcc_lo, v5, v12, vcc_lo
	v_mul_hi_u32 v16, v9, v6
	v_mad_u64_u32 v[12:13], null, v10, v6, 0
	v_mad_u64_u32 v[4:5], null, v9, v14, 0
	v_mad_u64_u32 v[14:15], null, v10, v14, 0
	v_add_co_u32 v4, vcc_lo, v16, v4
	v_add_co_ci_u32_e32 v5, vcc_lo, 0, v5, vcc_lo
	v_add_co_u32 v4, vcc_lo, v4, v12
	v_add_co_ci_u32_e32 v4, vcc_lo, v5, v13, vcc_lo
	v_add_co_ci_u32_e32 v5, vcc_lo, 0, v15, vcc_lo
	v_add_co_u32 v12, vcc_lo, v4, v14
	v_add_co_ci_u32_e32 v6, vcc_lo, 0, v5, vcc_lo
	v_mul_lo_u32 v13, s25, v12
	v_mad_u64_u32 v[4:5], null, s24, v12, 0
	v_mul_lo_u32 v14, s24, v6
	v_sub_co_u32 v4, vcc_lo, v9, v4
	v_add3_u32 v5, v5, v14, v13
	v_sub_nc_u32_e32 v13, v10, v5
	v_subrev_co_ci_u32_e64 v13, s0, s25, v13, vcc_lo
	v_add_co_u32 v14, s0, v12, 2
	v_add_co_ci_u32_e64 v15, s0, 0, v6, s0
	v_sub_co_u32 v16, s0, v4, s24
	v_sub_co_ci_u32_e32 v5, vcc_lo, v10, v5, vcc_lo
	v_subrev_co_ci_u32_e64 v13, s0, 0, v13, s0
	v_cmp_le_u32_e32 vcc_lo, s24, v16
	v_cmp_eq_u32_e64 s0, s25, v5
	v_cndmask_b32_e64 v16, 0, -1, vcc_lo
	v_cmp_le_u32_e32 vcc_lo, s25, v13
	v_cndmask_b32_e64 v17, 0, -1, vcc_lo
	v_cmp_le_u32_e32 vcc_lo, s24, v4
	;; [unrolled: 2-line block ×3, first 2 shown]
	v_cndmask_b32_e64 v18, 0, -1, vcc_lo
	v_cmp_eq_u32_e32 vcc_lo, s25, v13
	v_cndmask_b32_e64 v4, v18, v4, s0
	v_cndmask_b32_e32 v13, v17, v16, vcc_lo
	v_add_co_u32 v16, vcc_lo, v12, 1
	v_add_co_ci_u32_e32 v17, vcc_lo, 0, v6, vcc_lo
	v_cmp_ne_u32_e32 vcc_lo, 0, v13
	v_cndmask_b32_e32 v5, v17, v15, vcc_lo
	v_cndmask_b32_e32 v13, v16, v14, vcc_lo
	v_cmp_ne_u32_e32 vcc_lo, 0, v4
	v_cndmask_b32_e32 v6, v6, v5, vcc_lo
	v_cndmask_b32_e32 v5, v12, v13, vcc_lo
.LBB0_4:                                ;   in Loop: Header=BB0_2 Depth=1
	s_andn2_saveexec_b32 s0, s1
	s_cbranch_execz .LBB0_6
; %bb.5:                                ;   in Loop: Header=BB0_2 Depth=1
	v_cvt_f32_u32_e32 v4, s24
	s_sub_i32 s1, 0, s24
	v_rcp_iflag_f32_e32 v4, v4
	v_mul_f32_e32 v4, 0x4f7ffffe, v4
	v_cvt_u32_f32_e32 v4, v4
	v_mul_lo_u32 v5, s1, v4
	v_mul_hi_u32 v5, v4, v5
	v_add_nc_u32_e32 v4, v4, v5
	v_mul_hi_u32 v4, v9, v4
	v_mul_lo_u32 v5, v4, s24
	v_add_nc_u32_e32 v6, 1, v4
	v_sub_nc_u32_e32 v5, v9, v5
	v_subrev_nc_u32_e32 v12, s24, v5
	v_cmp_le_u32_e32 vcc_lo, s24, v5
	v_cndmask_b32_e32 v5, v5, v12, vcc_lo
	v_cndmask_b32_e32 v4, v4, v6, vcc_lo
	v_cmp_le_u32_e32 vcc_lo, s24, v5
	v_add_nc_u32_e32 v6, 1, v4
	v_cndmask_b32_e32 v5, v4, v6, vcc_lo
	v_mov_b32_e32 v6, v3
.LBB0_6:                                ;   in Loop: Header=BB0_2 Depth=1
	s_or_b32 exec_lo, exec_lo, s0
	v_mul_lo_u32 v4, v6, s24
	v_mul_lo_u32 v14, v5, s25
	s_load_dwordx2 s[0:1], s[6:7], 0x0
	v_mad_u64_u32 v[12:13], null, v5, s24, 0
	s_load_dwordx2 s[24:25], s[2:3], 0x0
	s_add_u32 s22, s22, 1
	s_addc_u32 s23, s23, 0
	s_add_u32 s2, s2, 8
	s_addc_u32 s3, s3, 0
	s_add_u32 s6, s6, 8
	v_add3_u32 v4, v13, v14, v4
	v_sub_co_u32 v9, vcc_lo, v9, v12
	s_addc_u32 s7, s7, 0
	s_add_u32 s20, s20, 8
	v_sub_co_ci_u32_e32 v4, vcc_lo, v10, v4, vcc_lo
	s_addc_u32 s21, s21, 0
	s_waitcnt lgkmcnt(0)
	v_mul_lo_u32 v10, s0, v4
	v_mul_lo_u32 v12, s1, v9
	v_mad_u64_u32 v[7:8], null, s0, v9, v[7:8]
	v_mul_lo_u32 v4, s24, v4
	v_mul_lo_u32 v13, s25, v9
	v_mad_u64_u32 v[1:2], null, s24, v9, v[1:2]
	v_cmp_ge_u64_e64 s0, s[22:23], s[14:15]
	v_add3_u32 v8, v12, v8, v10
	v_add3_u32 v2, v13, v2, v4
	s_and_b32 vcc_lo, exec_lo, s0
	s_cbranch_vccnz .LBB0_9
; %bb.7:                                ;   in Loop: Header=BB0_2 Depth=1
	v_mov_b32_e32 v10, v6
	v_mov_b32_e32 v9, v5
	s_branch .LBB0_2
.LBB0_8:
	v_mov_b32_e32 v1, v7
	v_mov_b32_e32 v5, v9
	;; [unrolled: 1-line block ×4, first 2 shown]
.LBB0_9:
	s_load_dwordx2 s[0:1], s[4:5], 0x28
	v_and_b32_e32 v3, 1, v11
	v_mul_hi_u32 v4, 0x28f5c29, v0
	s_lshl_b64 s[4:5], s[14:15], 3
	s_add_u32 s2, s18, s4
	s_addc_u32 s3, s19, s5
	s_waitcnt lgkmcnt(0)
	v_cmp_gt_u64_e32 vcc_lo, s[0:1], v[5:6]
	v_cmp_le_u64_e64 s1, s[0:1], v[5:6]
	v_cmp_eq_u32_e64 s0, 1, v3
                                        ; implicit-def: $vgpr3
	s_and_saveexec_b32 s6, s1
	s_xor_b32 s1, exec_lo, s6
; %bb.10:
	v_mul_u32_u24_e32 v3, 0x64, v4
                                        ; implicit-def: $vgpr4
                                        ; implicit-def: $vgpr7_vgpr8
	v_sub_nc_u32_e32 v3, v0, v3
                                        ; implicit-def: $vgpr0
; %bb.11:
	s_or_saveexec_b32 s1, s1
	s_load_dwordx2 s[2:3], s[2:3], 0x0
	v_cndmask_b32_e64 v33, 0, 0x641, s0
	v_lshlrev_b32_e32 v30, 2, v33
	s_xor_b32 exec_lo, exec_lo, s1
	s_cbranch_execz .LBB0_15
; %bb.12:
	s_add_u32 s4, s16, s4
	s_addc_u32 s5, s17, s5
	v_lshlrev_b64 v[7:8], 2, v[7:8]
	s_load_dwordx2 s[4:5], s[4:5], 0x0
	s_waitcnt lgkmcnt(0)
	v_mul_lo_u32 v3, s5, v5
	v_mul_lo_u32 v11, s4, v6
	v_mad_u64_u32 v[9:10], null, s4, v5, 0
	s_mov_b32 s4, exec_lo
	v_add3_u32 v10, v10, v11, v3
	v_mul_u32_u24_e32 v3, 0x64, v4
	v_lshlrev_b64 v[9:10], 2, v[9:10]
	v_sub_nc_u32_e32 v3, v0, v3
	v_lshlrev_b32_e32 v13, 2, v3
	v_add_co_u32 v0, s0, s8, v9
	v_add_co_ci_u32_e64 v4, s0, s9, v10, s0
	v_add_co_u32 v0, s0, v0, v7
	v_add_co_ci_u32_e64 v4, s0, v4, v8, s0
	v_add_co_u32 v7, s0, v0, v13
	v_add_co_ci_u32_e64 v8, s0, 0, v4, s0
	v_add_co_u32 v9, s0, 0x800, v7
	v_add_co_ci_u32_e64 v10, s0, 0, v8, s0
	v_add_co_u32 v11, s0, 0x1000, v7
	v_add_co_ci_u32_e64 v12, s0, 0, v8, s0
	s_clause 0xf
	global_load_dword v14, v[7:8], off
	global_load_dword v15, v[7:8], off offset:400
	global_load_dword v16, v[7:8], off offset:800
	global_load_dword v17, v[7:8], off offset:1200
	global_load_dword v18, v[7:8], off offset:1600
	global_load_dword v8, v[7:8], off offset:2000
	global_load_dword v19, v[9:10], off offset:352
	global_load_dword v20, v[9:10], off offset:752
	global_load_dword v21, v[9:10], off offset:1152
	global_load_dword v22, v[9:10], off offset:1552
	global_load_dword v9, v[9:10], off offset:1952
	global_load_dword v10, v[11:12], off offset:304
	global_load_dword v23, v[11:12], off offset:704
	global_load_dword v24, v[11:12], off offset:1104
	global_load_dword v25, v[11:12], off offset:1504
	global_load_dword v11, v[11:12], off offset:1904
	v_add3_u32 v7, 0, v30, v13
	v_add_nc_u32_e32 v12, 0x200, v7
	v_add_nc_u32_e32 v13, 0x400, v7
	;; [unrolled: 1-line block ×7, first 2 shown]
	s_waitcnt vmcnt(14)
	ds_write2_b32 v7, v14, v15 offset1:100
	s_waitcnt vmcnt(12)
	ds_write2_b32 v12, v16, v17 offset0:72 offset1:172
	s_waitcnt vmcnt(10)
	ds_write2_b32 v13, v18, v8 offset0:144 offset1:244
	;; [unrolled: 2-line block ×7, first 2 shown]
	v_cmpx_eq_u32_e32 0x63, v3
	s_cbranch_execz .LBB0_14
; %bb.13:
	v_add_co_u32 v3, s0, 0x1800, v0
	v_add_co_ci_u32_e64 v4, s0, 0, v4, s0
	global_load_dword v0, v[3:4], off offset:256
	v_mov_b32_e32 v3, 0x63
	s_waitcnt vmcnt(0)
	ds_write_b32 v7, v0 offset:6004
.LBB0_14:
	s_or_b32 exec_lo, exec_lo, s4
.LBB0_15:
	s_or_b32 exec_lo, exec_lo, s1
	v_lshl_add_u32 v0, v33, 2, 0
	v_lshlrev_b32_e32 v11, 2, v3
	s_waitcnt lgkmcnt(0)
	s_barrier
	buffer_gl0_inv
	s_add_u32 s1, s12, 0x18d8
	v_add_nc_u32_e32 v29, v0, v11
	v_sub_nc_u32_e32 v9, v0, v11
	s_addc_u32 s4, s13, 0
	s_mov_b32 s5, exec_lo
	ds_read_u16 v13, v29
	ds_read_u16 v14, v9 offset:6400
                                        ; implicit-def: $vgpr7_vgpr8
	s_waitcnt lgkmcnt(0)
	v_add_f16_e32 v12, v14, v13
	v_sub_f16_e32 v10, v13, v14
	v_cmpx_ne_u32_e32 0, v3
	s_xor_b32 s5, exec_lo, s5
	s_cbranch_execz .LBB0_17
; %bb.16:
	v_mov_b32_e32 v4, 0
	v_add_f16_e32 v12, v14, v13
	v_sub_f16_e32 v13, v13, v14
	v_lshlrev_b64 v[7:8], 2, v[3:4]
	v_add_co_u32 v7, s0, s1, v7
	v_add_co_ci_u32_e64 v8, s0, s4, v8, s0
	global_load_dword v7, v[7:8], off
	ds_read_u16 v8, v9 offset:6402
	ds_read_u16 v10, v29 offset:2
	s_waitcnt lgkmcnt(0)
	v_add_f16_e32 v14, v8, v10
	v_sub_f16_e32 v8, v10, v8
	s_waitcnt vmcnt(0)
	v_lshrrev_b32_e32 v15, 16, v7
	v_fma_f16 v16, -v13, v15, v12
	v_fma_f16 v17, v14, v15, -v8
	v_fma_f16 v10, v14, v15, v8
	v_fma_f16 v12, v13, v15, v12
	v_fmac_f16_e32 v16, v7, v14
	v_fmac_f16_e32 v17, v13, v7
	;; [unrolled: 1-line block ×3, first 2 shown]
	v_fma_f16 v12, -v7, v14, v12
	v_mov_b32_e32 v8, v4
	v_mov_b32_e32 v7, v3
	v_pack_b32_f16 v13, v16, v17
	ds_write_b32 v9, v13 offset:6400
.LBB0_17:
	s_andn2_saveexec_b32 s0, s5
	s_cbranch_execz .LBB0_19
; %bb.18:
	ds_read_b32 v4, v0 offset:3200
	v_mov_b32_e32 v7, 0
	v_mov_b32_e32 v8, 0
	s_waitcnt lgkmcnt(0)
	v_pk_mul_f16 v4, 0xc0004000, v4
	ds_write_b32 v0, v4 offset:3200
.LBB0_19:
	s_or_b32 exec_lo, exec_lo, s0
	v_lshlrev_b64 v[7:8], 2, v[7:8]
	v_add_co_u32 v7, s0, s1, v7
	v_add_co_ci_u32_e64 v8, s0, s4, v8, s0
	s_clause 0x4
	global_load_dword v4, v[7:8], off offset:400
	global_load_dword v13, v[7:8], off offset:800
	;; [unrolled: 1-line block ×5, first 2 shown]
	v_add_co_u32 v7, s0, 0x800, v7
	v_add_co_ci_u32_e64 v8, s0, 0, v8, s0
	v_cmp_gt_u32_e64 s0, 60, v3
	s_clause 0x1
	global_load_dword v17, v[7:8], off offset:352
	global_load_dword v18, v[7:8], off offset:752
	v_perm_b32 v7, v10, v12, 0x5040100
	ds_write_b32 v29, v7
	ds_read_b32 v7, v29 offset:400
	ds_read_b32 v8, v9 offset:6000
	s_waitcnt lgkmcnt(0)
	v_add_f16_e32 v10, v7, v8
	v_add_f16_sdwa v12, v8, v7 dst_sel:DWORD dst_unused:UNUSED_PAD src0_sel:WORD_1 src1_sel:WORD_1
	v_sub_f16_e32 v19, v7, v8
	v_sub_f16_sdwa v7, v7, v8 dst_sel:DWORD dst_unused:UNUSED_PAD src0_sel:WORD_1 src1_sel:WORD_1
	s_waitcnt vmcnt(6)
	v_lshrrev_b32_e32 v20, 16, v4
	v_fma_f16 v8, v19, v20, v10
	v_fma_f16 v21, v12, v20, v7
	v_fma_f16 v10, -v19, v20, v10
	v_fma_f16 v7, v12, v20, -v7
	v_fma_f16 v8, -v4, v12, v8
	v_fmac_f16_e32 v21, v19, v4
	v_fmac_f16_e32 v10, v4, v12
	;; [unrolled: 1-line block ×3, first 2 shown]
	v_pack_b32_f16 v4, v8, v21
	s_waitcnt vmcnt(5)
	v_lshrrev_b32_e32 v8, 16, v13
	v_pack_b32_f16 v7, v10, v7
	ds_write_b32 v29, v4 offset:400
	ds_write_b32 v9, v7 offset:6000
	ds_read_b32 v4, v29 offset:800
	ds_read_b32 v7, v9 offset:5600
	s_waitcnt lgkmcnt(0)
	v_add_f16_e32 v10, v4, v7
	v_add_f16_sdwa v12, v7, v4 dst_sel:DWORD dst_unused:UNUSED_PAD src0_sel:WORD_1 src1_sel:WORD_1
	v_sub_f16_e32 v19, v4, v7
	v_sub_f16_sdwa v4, v4, v7 dst_sel:DWORD dst_unused:UNUSED_PAD src0_sel:WORD_1 src1_sel:WORD_1
	v_fma_f16 v7, v19, v8, v10
	v_fma_f16 v20, v12, v8, v4
	v_fma_f16 v10, -v19, v8, v10
	v_fma_f16 v4, v12, v8, -v4
	s_waitcnt vmcnt(4)
	v_lshrrev_b32_e32 v8, 16, v14
	v_fma_f16 v7, -v13, v12, v7
	v_fmac_f16_e32 v20, v19, v13
	v_fmac_f16_e32 v10, v13, v12
	;; [unrolled: 1-line block ×3, first 2 shown]
	v_pack_b32_f16 v7, v7, v20
	v_pack_b32_f16 v4, v10, v4
	ds_write_b32 v29, v7 offset:800
	ds_write_b32 v9, v4 offset:5600
	ds_read_b32 v4, v29 offset:1200
	ds_read_b32 v7, v9 offset:5200
	s_waitcnt lgkmcnt(0)
	v_add_f16_e32 v10, v4, v7
	v_add_f16_sdwa v12, v7, v4 dst_sel:DWORD dst_unused:UNUSED_PAD src0_sel:WORD_1 src1_sel:WORD_1
	v_sub_f16_e32 v13, v4, v7
	v_sub_f16_sdwa v4, v4, v7 dst_sel:DWORD dst_unused:UNUSED_PAD src0_sel:WORD_1 src1_sel:WORD_1
	v_fma_f16 v7, v13, v8, v10
	v_fma_f16 v19, v12, v8, v4
	v_fma_f16 v10, -v13, v8, v10
	v_fma_f16 v4, v12, v8, -v4
	s_waitcnt vmcnt(3)
	v_lshrrev_b32_e32 v8, 16, v15
	v_fma_f16 v7, -v14, v12, v7
	v_fmac_f16_e32 v19, v13, v14
	v_fmac_f16_e32 v10, v14, v12
	;; [unrolled: 1-line block ×3, first 2 shown]
	v_pack_b32_f16 v7, v7, v19
	v_mul_u32_u24_e32 v19, 10, v3
	v_pack_b32_f16 v4, v10, v4
	ds_write_b32 v29, v7 offset:1200
	ds_write_b32 v9, v4 offset:5200
	ds_read_b32 v4, v29 offset:1600
	ds_read_b32 v7, v9 offset:4800
	v_lshl_add_u32 v39, v19, 2, 0
	v_add_nc_u32_e32 v50, v39, v30
	s_waitcnt lgkmcnt(0)
	v_add_f16_e32 v10, v4, v7
	v_add_f16_sdwa v12, v7, v4 dst_sel:DWORD dst_unused:UNUSED_PAD src0_sel:WORD_1 src1_sel:WORD_1
	v_sub_f16_e32 v13, v4, v7
	v_sub_f16_sdwa v4, v4, v7 dst_sel:DWORD dst_unused:UNUSED_PAD src0_sel:WORD_1 src1_sel:WORD_1
	v_fma_f16 v7, v13, v8, v10
	v_fma_f16 v14, v12, v8, v4
	v_fma_f16 v10, -v13, v8, v10
	v_fma_f16 v4, v12, v8, -v4
	s_waitcnt vmcnt(2)
	v_lshrrev_b32_e32 v8, 16, v16
	v_fma_f16 v7, -v15, v12, v7
	v_fmac_f16_e32 v14, v13, v15
	v_fmac_f16_e32 v10, v15, v12
	;; [unrolled: 1-line block ×3, first 2 shown]
	v_pack_b32_f16 v7, v7, v14
	v_pack_b32_f16 v4, v10, v4
	ds_write_b32 v29, v7 offset:1600
	ds_write_b32 v9, v4 offset:4800
	ds_read_b32 v4, v29 offset:2000
	ds_read_b32 v7, v9 offset:4400
	s_waitcnt lgkmcnt(0)
	v_add_f16_e32 v10, v4, v7
	v_add_f16_sdwa v12, v7, v4 dst_sel:DWORD dst_unused:UNUSED_PAD src0_sel:WORD_1 src1_sel:WORD_1
	v_sub_f16_e32 v13, v4, v7
	v_sub_f16_sdwa v4, v4, v7 dst_sel:DWORD dst_unused:UNUSED_PAD src0_sel:WORD_1 src1_sel:WORD_1
	v_fma_f16 v7, v13, v8, v10
	v_fma_f16 v14, v12, v8, v4
	v_fma_f16 v10, -v13, v8, v10
	v_fma_f16 v4, v12, v8, -v4
	s_waitcnt vmcnt(1)
	v_lshrrev_b32_e32 v8, 16, v17
	v_fma_f16 v7, -v16, v12, v7
	v_fmac_f16_e32 v14, v13, v16
	v_fmac_f16_e32 v10, v16, v12
	;; [unrolled: 1-line block ×3, first 2 shown]
	v_pack_b32_f16 v7, v7, v14
	v_pack_b32_f16 v4, v10, v4
	ds_write_b32 v29, v7 offset:2000
	ds_write_b32 v9, v4 offset:4400
	ds_read_b32 v4, v29 offset:2400
	ds_read_b32 v7, v9 offset:4000
	s_waitcnt lgkmcnt(0)
	v_add_f16_e32 v10, v4, v7
	v_add_f16_sdwa v12, v7, v4 dst_sel:DWORD dst_unused:UNUSED_PAD src0_sel:WORD_1 src1_sel:WORD_1
	v_sub_f16_e32 v13, v4, v7
	v_sub_f16_sdwa v4, v4, v7 dst_sel:DWORD dst_unused:UNUSED_PAD src0_sel:WORD_1 src1_sel:WORD_1
	v_fma_f16 v7, v13, v8, v10
	v_fma_f16 v14, v12, v8, v4
	v_fma_f16 v10, -v13, v8, v10
	v_fma_f16 v4, v12, v8, -v4
	v_fma_f16 v7, -v17, v12, v7
	v_fmac_f16_e32 v14, v13, v17
	v_fmac_f16_e32 v10, v17, v12
	;; [unrolled: 1-line block ×3, first 2 shown]
	v_pack_b32_f16 v7, v7, v14
	v_pack_b32_f16 v4, v10, v4
	ds_write_b32 v29, v7 offset:2400
	ds_write_b32 v9, v4 offset:4000
	ds_read_b32 v4, v29 offset:2800
	ds_read_b32 v7, v9 offset:3600
	s_waitcnt vmcnt(0)
	v_lshrrev_b32_e32 v10, 16, v18
	s_waitcnt lgkmcnt(0)
	v_add_f16_e32 v8, v4, v7
	v_add_f16_sdwa v12, v7, v4 dst_sel:DWORD dst_unused:UNUSED_PAD src0_sel:WORD_1 src1_sel:WORD_1
	v_sub_f16_e32 v13, v4, v7
	v_sub_f16_sdwa v4, v4, v7 dst_sel:DWORD dst_unused:UNUSED_PAD src0_sel:WORD_1 src1_sel:WORD_1
	v_fma_f16 v14, v13, v10, v8
	v_fma_f16 v7, v12, v10, v4
	v_fma_f16 v8, -v13, v10, v8
	v_fma_f16 v10, v12, v10, -v4
	v_add3_u32 v4, 0, v11, v30
	v_fma_f16 v11, -v18, v12, v14
	v_fmac_f16_e32 v7, v13, v18
	v_fmac_f16_e32 v8, v18, v12
	;; [unrolled: 1-line block ×3, first 2 shown]
	v_add_nc_u32_e32 v35, 0x400, v4
	v_add_nc_u32_e32 v38, 0xa00, v4
	v_pack_b32_f16 v7, v11, v7
	v_add_nc_u32_e32 v36, 0x1000, v4
	v_pack_b32_f16 v8, v8, v10
	ds_write_b32 v29, v7 offset:2800
	ds_write_b32 v9, v8 offset:3600
	v_add_nc_u32_e32 v7, 0x800, v4
	v_add_nc_u32_e32 v8, 0x1200, v4
	;; [unrolled: 1-line block ×4, first 2 shown]
	s_waitcnt lgkmcnt(0)
	s_barrier
	buffer_gl0_inv
	s_barrier
	buffer_gl0_inv
	ds_read2_b32 v[17:18], v35 offset0:164 offset1:224
	ds_read2_b32 v[15:16], v38 offset0:100 offset1:160
	;; [unrolled: 1-line block ×9, first 2 shown]
	ds_read_b32 v40, v4 offset:6160
	ds_read_b32 v7, v29
	s_waitcnt lgkmcnt(0)
	s_barrier
	buffer_gl0_inv
	v_sub_f16_e32 v32, v17, v15
	v_sub_f16_e32 v43, v15, v17
	;; [unrolled: 1-line block ×4, first 2 shown]
	v_add_f16_sdwa v45, v15, v13 dst_sel:DWORD dst_unused:UNUSED_PAD src0_sel:WORD_1 src1_sel:WORD_1
	v_lshrrev_b32_e32 v41, 16, v23
	v_sub_f16_sdwa v46, v17, v15 dst_sel:DWORD dst_unused:UNUSED_PAD src0_sel:WORD_1 src1_sel:WORD_1
	v_sub_f16_sdwa v47, v11, v13 dst_sel:DWORD dst_unused:UNUSED_PAD src0_sel:WORD_1 src1_sel:WORD_1
	v_add_f16_sdwa v48, v17, v11 dst_sel:DWORD dst_unused:UNUSED_PAD src0_sel:WORD_1 src1_sel:WORD_1
	v_sub_f16_sdwa v49, v15, v17 dst_sel:DWORD dst_unused:UNUSED_PAD src0_sel:WORD_1 src1_sel:WORD_1
	v_sub_f16_sdwa v51, v13, v11 dst_sel:DWORD dst_unused:UNUSED_PAD src0_sel:WORD_1 src1_sel:WORD_1
	v_sub_f16_e32 v52, v40, v19
	v_sub_f16_e32 v53, v25, v21
	v_sub_f16_sdwa v58, v25, v21 dst_sel:DWORD dst_unused:UNUSED_PAD src0_sel:WORD_1 src1_sel:WORD_1
	v_sub_f16_sdwa v59, v40, v19 dst_sel:DWORD dst_unused:UNUSED_PAD src0_sel:WORD_1 src1_sel:WORD_1
	;; [unrolled: 1-line block ×4, first 2 shown]
	v_add_f16_sdwa v67, v26, v22 dst_sel:DWORD dst_unused:UNUSED_PAD src0_sel:WORD_1 src1_sel:WORD_1
	v_lshrrev_b32_e32 v68, 16, v7
	v_add_f16_sdwa v78, v16, v14 dst_sel:DWORD dst_unused:UNUSED_PAD src0_sel:WORD_1 src1_sel:WORD_1
	v_lshrrev_b32_e32 v79, 16, v24
	v_add_f16_e32 v99, v16, v14
	v_add_f16_sdwa v82, v18, v12 dst_sel:DWORD dst_unused:UNUSED_PAD src0_sel:WORD_1 src1_sel:WORD_1
	v_add_f16_sdwa v56, v21, v19 dst_sel:DWORD dst_unused:UNUSED_PAD src0_sel:WORD_1 src1_sel:WORD_1
	v_lshrrev_b32_e32 v57, 16, v27
	v_add_f16_e32 v8, v15, v13
	v_add_f16_e32 v44, v17, v11
	v_sub_f16_e32 v54, v19, v40
	v_sub_f16_e32 v55, v21, v25
	v_add_f16_sdwa v60, v25, v40 dst_sel:DWORD dst_unused:UNUSED_PAD src0_sel:WORD_1 src1_sel:WORD_1
	v_sub_f16_e32 v63, v20, v22
	v_sub_f16_e32 v64, v28, v26
	;; [unrolled: 1-line block ×3, first 2 shown]
	v_sub_f16_sdwa v69, v28, v26 dst_sel:DWORD dst_unused:UNUSED_PAD src0_sel:WORD_1 src1_sel:WORD_1
	v_add_f16_sdwa v71, v28, v20 dst_sel:DWORD dst_unused:UNUSED_PAD src0_sel:WORD_1 src1_sel:WORD_1
	v_sub_f16_sdwa v72, v26, v28 dst_sel:DWORD dst_unused:UNUSED_PAD src0_sel:WORD_1 src1_sel:WORD_1
	v_sub_f16_sdwa v80, v18, v16 dst_sel:DWORD dst_unused:UNUSED_PAD src0_sel:WORD_1 src1_sel:WORD_1
	;; [unrolled: 1-line block ×3, first 2 shown]
	v_add_f16_e32 v87, v21, v19
	v_add_f16_e32 v94, v28, v20
	v_sub_f16_sdwa v95, v28, v20 dst_sel:DWORD dst_unused:UNUSED_PAD src0_sel:WORD_1 src1_sel:WORD_1
	v_sub_f16_e32 v97, v28, v20
	v_sub_f16_sdwa v101, v18, v12 dst_sel:DWORD dst_unused:UNUSED_PAD src0_sel:WORD_1 src1_sel:WORD_1
	v_sub_f16_e32 v103, v18, v12
	v_pk_add_f16 v28, v7, v28
	v_pk_add_f16 v105, v24, v18
	v_add_f16_e32 v31, v32, v31
	v_add_f16_e32 v32, v43, v42
	;; [unrolled: 1-line block ×3, first 2 shown]
	v_fma_f16 v42, -0.5, v45, v41
	v_fmac_f16_e32 v41, -0.5, v48
	v_add_f16_e32 v47, v49, v51
	v_add_f16_e32 v48, v53, v52
	;; [unrolled: 1-line block ×4, first 2 shown]
	v_fma_f16 v58, -0.5, v67, v68
	v_fma_f16 v62, -0.5, v78, v79
	;; [unrolled: 1-line block ×3, first 2 shown]
	v_sub_f16_sdwa v70, v20, v22 dst_sel:DWORD dst_unused:UNUSED_PAD src0_sel:WORD_1 src1_sel:WORD_1
	v_add_f16_e32 v100, v18, v12
	v_sub_f16_e32 v104, v16, v14
	v_fmac_f16_e32 v79, -0.5, v82
	v_sub_f16_e32 v65, v22, v20
	v_sub_f16_sdwa v73, v22, v20 dst_sel:DWORD dst_unused:UNUSED_PAD src0_sel:WORD_1 src1_sel:WORD_1
	v_add_f16_e32 v88, v25, v40
	v_sub_f16_e32 v91, v25, v40
	v_fma_f16 v52, -0.5, v56, v57
	v_sub_f16_sdwa v9, v17, v11 dst_sel:DWORD dst_unused:UNUSED_PAD src0_sel:WORD_1 src1_sel:WORD_1
	v_sub_f16_sdwa v10, v15, v13 dst_sel:DWORD dst_unused:UNUSED_PAD src0_sel:WORD_1 src1_sel:WORD_1
	v_sub_f16_e32 v74, v12, v14
	v_sub_f16_e32 v75, v18, v16
	;; [unrolled: 1-line block ×3, first 2 shown]
	v_sub_f16_sdwa v83, v16, v18 dst_sel:DWORD dst_unused:UNUSED_PAD src0_sel:WORD_1 src1_sel:WORD_1
	v_sub_f16_sdwa v89, v25, v40 dst_sel:DWORD dst_unused:UNUSED_PAD src0_sel:WORD_1 src1_sel:WORD_1
	v_sub_f16_e32 v92, v21, v19
	v_add_f16_e32 v93, v26, v22
	v_sub_f16_sdwa v96, v26, v22 dst_sel:DWORD dst_unused:UNUSED_PAD src0_sel:WORD_1 src1_sel:WORD_1
	v_sub_f16_e32 v98, v26, v22
	v_sub_f16_sdwa v102, v16, v14 dst_sel:DWORD dst_unused:UNUSED_PAD src0_sel:WORD_1 src1_sel:WORD_1
	v_add_f16_e32 v49, v55, v54
	v_fmac_f16_e32 v57, -0.5, v60
	v_add_f16_e32 v54, v64, v63
	v_fma_f16 v43, -0.5, v8, v23
	v_add_f16_e32 v8, v80, v81
	v_fma_f16 v18, -0.5, v44, v23
	v_fma_f16 v64, -0.5, v87, v27
	v_pk_add_f16 v26, v28, v26
	v_pk_add_f16 v28, v105, v16
	v_fmamk_f16 v78, v101, 0xbb9c, v67
	v_fmamk_f16 v81, v103, 0x3b9c, v62
	v_sub_f16_sdwa v84, v14, v12 dst_sel:DWORD dst_unused:UNUSED_PAD src0_sel:WORD_1 src1_sel:WORD_1
	v_add_f16_e32 v56, v69, v70
	v_fma_f16 v69, -0.5, v100, v24
	v_fmamk_f16 v82, v104, 0xbb9c, v79
	v_fmac_f16_e32 v79, 0x3b9c, v104
	v_sub_f16_e32 v86, v15, v13
	v_sub_f16_sdwa v90, v21, v19 dst_sel:DWORD dst_unused:UNUSED_PAD src0_sel:WORD_1 src1_sel:WORD_1
	v_add_f16_e32 v55, v66, v65
	v_add_f16_e32 v59, v72, v73
	v_fma_f16 v65, -0.5, v88, v27
	v_fmamk_f16 v72, v91, 0x3b9c, v52
	v_fmac_f16_e32 v52, 0xbb9c, v91
	v_fmac_f16_e32 v62, 0xbb9c, v103
	v_sub_f16_e32 v76, v14, v12
	v_sub_f16_e32 v85, v17, v11
	v_add_f16_e32 v60, v75, v74
	v_fma_f16 v66, -0.5, v93, v7
	v_fmamk_f16 v24, v9, 0xbb9c, v43
	v_fmac_f16_e32 v43, 0x3b9c, v9
	v_fmamk_f16 v16, v10, 0x3b9c, v18
	v_fmac_f16_e32 v18, 0xbb9c, v10
	v_fmamk_f16 v70, v89, 0xbb9c, v64
	v_fmamk_f16 v73, v92, 0xbb9c, v57
	v_fmac_f16_e32 v57, 0x3b9c, v92
	v_pk_add_f16 v22, v26, v22
	v_pk_add_f16 v14, v28, v14
	v_fmac_f16_e32 v78, 0xb8b4, v102
	v_fmac_f16_e32 v81, 0x38b4, v104
	v_fmac_f16_e32 v68, -0.5, v71
	v_add_f16_e32 v63, v83, v84
	v_fma_f16 v7, -0.5, v94, v7
	v_fmamk_f16 v80, v102, 0x3b9c, v69
	v_fmac_f16_e32 v69, 0xbb9c, v102
	v_fmac_f16_e32 v82, 0x38b4, v103
	;; [unrolled: 1-line block ×3, first 2 shown]
	v_fmamk_f16 v45, v86, 0xbb9c, v41
	v_fmac_f16_e32 v41, 0x3b9c, v86
	v_fmamk_f16 v71, v90, 0x3b9c, v65
	v_fmac_f16_e32 v65, 0xbb9c, v90
	v_fmac_f16_e32 v67, 0x3b9c, v101
	;; [unrolled: 1-line block ×4, first 2 shown]
	v_add_f16_e32 v61, v77, v76
	v_fmamk_f16 v44, v85, 0x3b9c, v42
	v_fmac_f16_e32 v42, 0xbb9c, v85
	v_fmac_f16_e32 v64, 0x3b9c, v89
	v_fmamk_f16 v74, v95, 0xbb9c, v66
	v_fmamk_f16 v76, v97, 0x3b9c, v58
	v_fmac_f16_e32 v24, 0xb8b4, v10
	v_fmac_f16_e32 v43, 0x38b4, v10
	;; [unrolled: 1-line block ×8, first 2 shown]
	v_pk_add_f16 v9, v22, v20
	v_pk_add_f16 v10, v14, v12
	v_fmac_f16_e32 v78, 0x34f2, v60
	v_fmac_f16_e32 v81, 0x34f2, v8
	v_fmamk_f16 v75, v96, 0x3b9c, v7
	v_fmac_f16_e32 v7, 0xbb9c, v96
	v_fmamk_f16 v77, v98, 0xbb9c, v68
	v_fmac_f16_e32 v68, 0x3b9c, v98
	v_fmac_f16_e32 v80, 0xb8b4, v101
	;; [unrolled: 1-line block ×23, first 2 shown]
	v_pk_add_f16 v51, v9, v10
	v_pk_add_f16 v53, v9, v10 neg_lo:[0,1] neg_hi:[0,1]
	v_mul_f16_e32 v8, 0xb8b4, v81
	v_mul_f16_e32 v9, 0x38b4, v78
	v_fmac_f16_e32 v75, 0xb8b4, v95
	v_fmac_f16_e32 v7, 0x38b4, v95
	;; [unrolled: 1-line block ×8, first 2 shown]
	v_mul_f16_e32 v10, 0xbb9c, v82
	v_mul_f16_e32 v26, 0x34f2, v82
	v_mul_f16_e32 v28, 0xbb9c, v79
	v_mul_f16_e32 v31, 0xb4f2, v79
	v_fmac_f16_e32 v66, 0x38b4, v96
	v_fmac_f16_e32 v58, 0xb8b4, v98
	;; [unrolled: 1-line block ×9, first 2 shown]
	v_mul_f16_e32 v47, 0xb8b4, v52
	v_mul_f16_e32 v49, 0xba79, v52
	;; [unrolled: 1-line block ×4, first 2 shown]
	v_fmac_f16_e32 v44, 0x34f2, v46
	v_fmac_f16_e32 v42, 0x34f2, v46
	;; [unrolled: 1-line block ×5, first 2 shown]
	v_mul_f16_e32 v14, 0xb8b4, v72
	v_mul_f16_e32 v22, 0x38b4, v70
	;; [unrolled: 1-line block ×6, first 2 shown]
	v_fmac_f16_e32 v8, 0x3a79, v78
	v_fmac_f16_e32 v9, 0x3a79, v81
	;; [unrolled: 1-line block ×22, first 2 shown]
	v_add_f16_e32 v54, v74, v8
	v_add_f16_e32 v63, v76, v9
	;; [unrolled: 1-line block ×8, first 2 shown]
	v_sub_f16_e32 v55, v74, v8
	v_sub_f16_e32 v57, v75, v10
	v_sub_f16_e32 v62, v66, v32
	v_sub_f16_e32 v64, v76, v9
	v_sub_f16_e32 v66, v77, v26
	v_sub_f16_e32 v60, v7, v28
	v_sub_f16_e32 v68, v68, v31
	v_sub_f16_e32 v52, v58, v52
	v_sub_f16_e32 v7, v24, v14
	v_sub_f16_e32 v8, v16, v12
	v_sub_f16_e32 v9, v18, v20
	v_sub_f16_e32 v10, v43, v47
	v_sub_f16_e32 v28, v44, v22
	v_sub_f16_e32 v26, v45, v46
	v_sub_f16_e32 v32, v41, v48
	v_sub_f16_e32 v31, v42, v49
	v_pack_b32_f16 v54, v54, v63
	v_pack_b32_f16 v58, v59, v67
	;; [unrolled: 1-line block ×8, first 2 shown]
	ds_write2_b32 v50, v51, v54 offset1:1
	ds_write2_b32 v50, v56, v58 offset0:2 offset1:3
	ds_write2_b32 v50, v59, v53 offset0:4 offset1:5
	;; [unrolled: 1-line block ×4, first 2 shown]
	s_and_saveexec_b32 s1, s0
	s_cbranch_execz .LBB0_21
; %bb.20:
	v_pk_add_f16 v17, v23, v17
	v_pk_add_f16 v23, v27, v25
	v_add_f16_e32 v22, v44, v22
	v_add_f16_e32 v14, v24, v14
	;; [unrolled: 1-line block ×3, first 2 shown]
	v_pk_add_f16 v15, v17, v15
	v_pk_add_f16 v17, v23, v21
	v_add_f16_e32 v21, v45, v46
	v_add_f16_e32 v12, v16, v12
	;; [unrolled: 1-line block ×3, first 2 shown]
	v_pk_add_f16 v13, v15, v13
	v_pk_add_f16 v15, v17, v19
	v_add_f16_e32 v17, v18, v20
	v_lshl_add_u32 v18, v33, 2, v39
	v_add_f16_e32 v23, v43, v47
	v_pk_add_f16 v11, v13, v11
	v_pk_add_f16 v13, v15, v40
	v_pack_b32_f16 v14, v14, v22
	v_add_nc_u32_e32 v15, 0xfa0, v18
	v_add_nc_u32_e32 v16, 0xfa8, v18
	v_pack_b32_f16 v17, v17, v27
	v_pk_add_f16 v19, v11, v13
	v_pack_b32_f16 v12, v12, v21
	v_add_nc_u32_e32 v20, 0xfb0, v18
	v_pk_add_f16 v11, v11, v13 neg_lo:[0,1] neg_hi:[0,1]
	v_pack_b32_f16 v13, v23, v25
	v_add_nc_u32_e32 v21, 0xfb8, v18
	v_perm_b32 v22, v26, v8, 0x5040100
	v_perm_b32 v23, v28, v7, 0x5040100
	v_add_nc_u32_e32 v18, 0xfc0, v18
	v_perm_b32 v24, v31, v10, 0x5040100
	v_perm_b32 v25, v32, v9, 0x5040100
	ds_write2_b32 v15, v19, v14 offset1:1
	ds_write2_b32 v16, v12, v17 offset1:1
	ds_write2_b32 v20, v13, v11 offset1:1
	ds_write2_b32 v21, v23, v22 offset1:1
	ds_write2_b32 v18, v25, v24 offset1:1
.LBB0_21:
	s_or_b32 exec_lo, exec_lo, s1
	v_and_b32_e32 v11, 0xff, v3
	v_mov_b32_e32 v12, 15
	s_waitcnt lgkmcnt(0)
	s_barrier
	buffer_gl0_inv
	v_mul_lo_u16 v11, 0xcd, v11
	v_mov_b32_e32 v52, 0xa0
	v_add_nc_u32_e32 v53, 0x200, v4
	v_add_nc_u32_e32 v54, 0x700, v4
	;; [unrolled: 1-line block ×3, first 2 shown]
	v_lshrrev_b16 v27, 11, v11
	v_mul_lo_u16 v11, v27, 10
	v_mul_u32_u24_sdwa v27, v27, v52 dst_sel:DWORD dst_unused:UNUSED_PAD src0_sel:WORD_0 src1_sel:DWORD
	v_sub_nc_u16 v33, v3, v11
	v_mul_u32_u24_sdwa v11, v33, v12 dst_sel:DWORD dst_unused:UNUSED_PAD src0_sel:BYTE_0 src1_sel:DWORD
	v_or_b32_sdwa v27, v27, v33 dst_sel:DWORD dst_unused:UNUSED_PAD src0_sel:DWORD src1_sel:BYTE_0
	v_lshlrev_b32_e32 v23, 2, v11
	v_lshlrev_b32_e32 v27, 2, v27
	s_clause 0x3
	global_load_dwordx4 v[11:14], v23, s[12:13]
	global_load_dwordx4 v[15:18], v23, s[12:13] offset:16
	global_load_dwordx4 v[19:22], v23, s[12:13] offset:32
	global_load_dwordx3 v[23:25], v23, s[12:13] offset:48
	ds_read2_b32 v[39:40], v35 offset0:44 offset1:144
	ds_read2_b32 v[41:42], v38 offset0:60 offset1:160
	;; [unrolled: 1-line block ×6, first 2 shown]
	ds_read_b32 v38, v4 offset:6000
	v_add_nc_u32_e32 v37, 0x600, v4
	ds_read_b32 v51, v29
	v_add3_u32 v70, 0, v27, v30
	ds_read2_b32 v[49:50], v37 offset0:116 offset1:216
	s_waitcnt vmcnt(0) lgkmcnt(0)
	s_barrier
	buffer_gl0_inv
	v_lshrrev_b32_e32 v52, 16, v40
	v_lshrrev_b32_e32 v56, 16, v41
	;; [unrolled: 1-line block ×16, first 2 shown]
	v_mul_f16_sdwa v27, v11, v65 dst_sel:DWORD dst_unused:UNUSED_PAD src0_sel:WORD_1 src1_sel:DWORD
	v_mul_f16_sdwa v30, v11, v47 dst_sel:DWORD dst_unused:UNUSED_PAD src0_sel:WORD_1 src1_sel:DWORD
	;; [unrolled: 1-line block ×6, first 2 shown]
	v_mul_f16_sdwa v75, v52, v14 dst_sel:DWORD dst_unused:UNUSED_PAD src0_sel:DWORD src1_sel:WORD_1
	v_mul_f16_sdwa v76, v40, v14 dst_sel:DWORD dst_unused:UNUSED_PAD src0_sel:DWORD src1_sel:WORD_1
	;; [unrolled: 1-line block ×24, first 2 shown]
	v_fmac_f16_e32 v27, v11, v47
	v_fmac_f16_e32 v71, v12, v48
	v_fma_f16 v11, v11, v65, -v30
	v_fma_f16 v12, v12, v33, -v72
	v_fmac_f16_e32 v73, v13, v39
	v_fma_f16 v13, v13, v66, -v74
	v_fmac_f16_e32 v75, v40, v14
	;; [unrolled: 2-line block ×13, first 2 shown]
	v_fma_f16 v25, v64, v25, -v98
	v_sub_f16_e32 v30, v51, v83
	v_sub_f16_e32 v18, v67, v18
	;; [unrolled: 1-line block ×16, first 2 shown]
	v_fma_f16 v44, v75, 2.0, -v33
	v_fma_f16 v14, v14, 2.0, -v22
	;; [unrolled: 1-line block ×10, first 2 shown]
	v_add_f16_e32 v22, v30, v22
	v_sub_f16_e32 v33, v18, v33
	v_add_f16_e32 v24, v35, v24
	v_sub_f16_e32 v36, v20, v36
	;; [unrolled: 2-line block ×4, first 2 shown]
	v_fma_f16 v42, v51, 2.0, -v30
	v_fma_f16 v43, v67, 2.0, -v18
	;; [unrolled: 1-line block ×10, first 2 shown]
	v_sub_f16_e32 v47, v27, v47
	v_fma_f16 v38, v38, 2.0, -v23
	v_fma_f16 v19, v19, 2.0, -v39
	v_sub_f16_e32 v49, v48, v49
	v_fma_f16 v40, v40, 2.0, -v25
	v_fma_f16 v21, v21, 2.0, -v41
	v_fmamk_f16 v51, v36, 0x39a8, v33
	v_sub_f16_e32 v44, v42, v44
	v_sub_f16_e32 v14, v43, v14
	;; [unrolled: 1-line block ×6, first 2 shown]
	v_fmamk_f16 v50, v24, 0x39a8, v22
	v_fmamk_f16 v52, v25, 0x39a8, v23
	;; [unrolled: 1-line block ×3, first 2 shown]
	v_fma_f16 v57, v27, 2.0, -v47
	v_fma_f16 v27, v48, 2.0, -v49
	v_fmamk_f16 v48, v35, 0xb9a8, v30
	v_fmamk_f16 v58, v20, 0xb9a8, v18
	v_fmac_f16_e32 v51, 0xb9a8, v24
	v_fmamk_f16 v24, v40, 0xb9a8, v38
	v_fmamk_f16 v60, v21, 0xb9a8, v19
	v_fma_f16 v45, v45, 2.0, -v46
	v_fma_f16 v11, v11, 2.0, -v15
	;; [unrolled: 1-line block ×3, first 2 shown]
	v_add_f16_e32 v59, v44, v16
	v_sub_f16_e32 v46, v14, v46
	v_fmac_f16_e32 v50, 0x39a8, v36
	v_add_f16_e32 v17, v47, v17
	v_sub_f16_e32 v49, v15, v49
	v_fmac_f16_e32 v52, 0x39a8, v41
	v_fmac_f16_e32 v56, 0xb9a8, v25
	v_fma_f16 v42, v42, 2.0, -v44
	v_fma_f16 v43, v43, 2.0, -v14
	;; [unrolled: 1-line block ×3, first 2 shown]
	v_fmac_f16_e32 v48, 0x39a8, v20
	v_fmac_f16_e32 v58, 0xb9a8, v35
	v_fmac_f16_e32 v24, 0x39a8, v21
	v_fmac_f16_e32 v60, 0xb9a8, v40
	v_fma_f16 v20, v44, 2.0, -v59
	v_fma_f16 v44, v14, 2.0, -v46
	;; [unrolled: 1-line block ×4, first 2 shown]
	v_sub_f16_e32 v13, v11, v13
	v_fma_f16 v21, v47, 2.0, -v17
	v_fma_f16 v40, v15, 2.0, -v49
	;; [unrolled: 1-line block ×4, first 2 shown]
	v_sub_f16_e32 v41, v42, v45
	v_sub_f16_e32 v45, v43, v12
	;; [unrolled: 1-line block ×3, first 2 shown]
	v_fmamk_f16 v15, v17, 0x39a8, v59
	v_fmamk_f16 v33, v49, 0x39a8, v46
	;; [unrolled: 1-line block ×4, first 2 shown]
	v_fma_f16 v47, v30, 2.0, -v48
	v_fma_f16 v18, v18, 2.0, -v58
	v_fma_f16 v38, v38, 2.0, -v24
	v_fma_f16 v19, v19, 2.0, -v60
	v_fma_f16 v62, v11, 2.0, -v13
	v_fmamk_f16 v11, v21, 0xb9a8, v20
	v_fmamk_f16 v25, v40, 0xb9a8, v44
	;; [unrolled: 1-line block ×4, first 2 shown]
	v_fma_f16 v57, v57, 2.0, -v14
	v_sub_f16_e32 v36, v45, v14
	v_fmamk_f16 v14, v24, 0x361f, v48
	v_fmamk_f16 v35, v60, 0x361f, v58
	v_add_f16_e32 v13, v41, v13
	v_fmac_f16_e32 v15, 0x39a8, v49
	v_fmac_f16_e32 v33, 0xb9a8, v17
	;; [unrolled: 1-line block ×4, first 2 shown]
	v_fma_f16 v42, v42, 2.0, -v41
	v_fma_f16 v43, v43, 2.0, -v45
	v_fmamk_f16 v52, v38, 0xbb64, v47
	v_fmamk_f16 v56, v19, 0xbb64, v18
	v_fmac_f16_e32 v11, 0x39a8, v40
	v_fmac_f16_e32 v25, 0xb9a8, v21
	;; [unrolled: 1-line block ×6, first 2 shown]
	v_fma_f16 v21, v41, 2.0, -v13
	v_fma_f16 v23, v45, 2.0, -v36
	;; [unrolled: 1-line block ×6, first 2 shown]
	v_sub_f16_e32 v17, v42, v57
	v_sub_f16_e32 v49, v43, v62
	v_pack_b32_f16 v46, v15, v33
	v_pack_b32_f16 v50, v16, v27
	v_fmac_f16_e32 v52, 0x361f, v19
	v_fmac_f16_e32 v56, 0xb61f, v38
	v_fma_f16 v19, v20, 2.0, -v11
	v_fma_f16 v20, v44, 2.0, -v25
	;; [unrolled: 1-line block ×6, first 2 shown]
	v_pack_b32_f16 v21, v21, v23
	v_pack_b32_f16 v23, v24, v39
	;; [unrolled: 1-line block ×3, first 2 shown]
	v_fma_f16 v42, v42, 2.0, -v17
	v_fma_f16 v43, v43, 2.0, -v49
	ds_write2_b32 v70, v46, v50 offset0:140 offset1:150
	v_fma_f16 v46, v47, 2.0, -v52
	v_fma_f16 v18, v18, 2.0, -v56
	v_pack_b32_f16 v45, v13, v36
	v_pack_b32_f16 v39, v11, v25
	;; [unrolled: 1-line block ×8, first 2 shown]
	ds_write2_b32 v70, v23, v24 offset0:60 offset1:70
	v_pack_b32_f16 v23, v52, v56
	v_pack_b32_f16 v42, v42, v43
	v_pack_b32_f16 v18, v46, v18
	ds_write2_b32 v70, v39, v40 offset0:100 offset1:110
	ds_write2_b32 v70, v45, v41 offset0:120 offset1:130
	;; [unrolled: 1-line block ×5, first 2 shown]
	ds_write2_b32 v70, v42, v18 offset1:10
	s_waitcnt lgkmcnt(0)
	s_barrier
	buffer_gl0_inv
	ds_read2_b32 v[23:24], v53 offset0:32 offset1:192
	ds_read2_b32 v[21:22], v54 offset0:32 offset1:192
	;; [unrolled: 1-line block ×4, first 2 shown]
	ds_read_b32 v29, v29
	ds_read_b32 v34, v4 offset:5760
	s_and_saveexec_b32 s1, s0
	s_cbranch_execz .LBB0_23
; %bb.22:
	v_add_nc_u32_e32 v7, 0x100, v4
	v_add_nc_u32_e32 v8, 0xb00, v4
	;; [unrolled: 1-line block ×4, first 2 shown]
	ds_read2_b32 v[13:14], v37 offset0:36 offset1:196
	ds_read2_b32 v[11:12], v7 offset0:36 offset1:196
	;; [unrolled: 1-line block ×5, first 2 shown]
	s_waitcnt lgkmcnt(4)
	v_lshrrev_b32_e32 v36, 16, v13
	v_lshrrev_b32_e32 v35, 16, v14
	s_waitcnt lgkmcnt(3)
	v_lshrrev_b32_e32 v25, 16, v11
	v_lshrrev_b32_e32 v30, 16, v12
	;; [unrolled: 3-line block ×5, first 2 shown]
.LBB0_23:
	s_or_b32 exec_lo, exec_lo, s1
	v_mul_u32_u24_e32 v37, 9, v3
	s_waitcnt lgkmcnt(2)
	v_lshrrev_b32_e32 v48, 16, v18
	v_lshrrev_b32_e32 v49, 16, v17
	;; [unrolled: 1-line block ×4, first 2 shown]
	v_lshlrev_b32_e32 v45, 2, v37
	v_lshrrev_b32_e32 v52, 16, v22
	v_lshrrev_b32_e32 v53, 16, v21
	;; [unrolled: 1-line block ×4, first 2 shown]
	s_clause 0x2
	global_load_dwordx4 v[37:40], v45, s[12:13] offset:600
	global_load_dwordx4 v[41:44], v45, s[12:13] offset:616
	global_load_dword v45, v45, s[12:13] offset:632
	s_waitcnt lgkmcnt(0)
	v_lshrrev_b32_e32 v47, 16, v34
	v_lshrrev_b32_e32 v46, 16, v29
	v_add_nc_u32_e32 v56, 0x400, v4
	v_add_nc_u32_e32 v57, 0xa00, v4
	;; [unrolled: 1-line block ×4, first 2 shown]
	s_waitcnt vmcnt(0)
	s_barrier
	buffer_gl0_inv
	v_mul_f16_sdwa v60, v37, v55 dst_sel:DWORD dst_unused:UNUSED_PAD src0_sel:WORD_1 src1_sel:DWORD
	v_mul_f16_sdwa v61, v37, v23 dst_sel:DWORD dst_unused:UNUSED_PAD src0_sel:WORD_1 src1_sel:DWORD
	;; [unrolled: 1-line block ×16, first 2 shown]
	v_mul_f16_sdwa v76, v47, v45 dst_sel:DWORD dst_unused:UNUSED_PAD src0_sel:DWORD src1_sel:WORD_1
	v_mul_f16_sdwa v77, v34, v45 dst_sel:DWORD dst_unused:UNUSED_PAD src0_sel:DWORD src1_sel:WORD_1
	v_fmac_f16_e32 v60, v37, v23
	v_fma_f16 v23, v37, v55, -v61
	v_fmac_f16_e32 v62, v38, v24
	v_fma_f16 v24, v38, v54, -v63
	;; [unrolled: 2-line block ×9, first 2 shown]
	v_sub_f16_e32 v41, v62, v66
	v_sub_f16_e32 v42, v74, v70
	;; [unrolled: 1-line block ×6, first 2 shown]
	v_add_f16_e32 v75, v23, v21
	v_add_f16_e32 v77, v19, v17
	;; [unrolled: 1-line block ×8, first 2 shown]
	v_sub_f16_e32 v49, v62, v74
	v_add_f16_e32 v53, v24, v18
	v_add_f16_e32 v55, v60, v64
	;; [unrolled: 1-line block ×3, first 2 shown]
	v_sub_f16_e32 v62, v21, v34
	v_sub_f16_e32 v63, v19, v17
	;; [unrolled: 1-line block ×3, first 2 shown]
	v_add_f16_e32 v69, v64, v76
	v_sub_f16_e32 v71, v68, v64
	v_sub_f16_e32 v64, v64, v76
	;; [unrolled: 1-line block ×4, first 2 shown]
	v_add_f16_e32 v41, v41, v42
	v_add_f16_e32 v42, v44, v45
	;; [unrolled: 1-line block ×4, first 2 shown]
	v_fma_f16 v52, -0.5, v77, v23
	v_sub_f16_e32 v67, v76, v72
	v_sub_f16_e32 v78, v68, v72
	v_fmac_f16_e32 v23, -0.5, v81
	v_sub_f16_e32 v39, v24, v18
	v_sub_f16_e32 v40, v22, v20
	;; [unrolled: 1-line block ×6, first 2 shown]
	v_fma_f16 v38, -0.5, v38, v29
	v_fmac_f16_e32 v29, -0.5, v43
	v_add_f16_e32 v22, v47, v22
	v_fma_f16 v43, -0.5, v48, v46
	v_fmac_f16_e32 v46, -0.5, v53
	v_fma_f16 v47, -0.5, v61, v60
	v_add_f16_e32 v17, v19, v17
	v_fmamk_f16 v19, v64, 0x3b9c, v52
	v_add_f16_e32 v37, v37, v66
	v_add_f16_e32 v45, v55, v68
	;; [unrolled: 1-line block ×3, first 2 shown]
	v_fmac_f16_e32 v60, -0.5, v69
	v_fmamk_f16 v67, v78, 0xbb9c, v23
	v_fmac_f16_e32 v23, 0x3b9c, v78
	v_sub_f16_e32 v54, v20, v18
	v_fmac_f16_e32 v52, 0xbb9c, v64
	v_add_f16_e32 v53, v79, v80
	v_add_f16_e32 v20, v22, v20
	v_fmamk_f16 v61, v50, 0xbb9c, v46
	v_fmac_f16_e32 v46, 0x3b9c, v50
	v_fmamk_f16 v65, v62, 0xbb9c, v47
	v_fmac_f16_e32 v19, 0x38b4, v78
	v_sub_f16_e32 v73, v72, v76
	v_add_f16_e32 v21, v21, v82
	v_add_f16_e32 v37, v37, v70
	;; [unrolled: 1-line block ×3, first 2 shown]
	v_fmamk_f16 v66, v63, 0x3b9c, v60
	v_fmac_f16_e32 v60, 0xbb9c, v63
	v_fmac_f16_e32 v67, 0x38b4, v64
	v_fmac_f16_e32 v23, 0xb8b4, v64
	v_add_f16_e32 v24, v24, v54
	v_fmamk_f16 v54, v39, 0xbb9c, v38
	v_fmac_f16_e32 v38, 0x3b9c, v39
	v_fmac_f16_e32 v47, 0x3b9c, v62
	;; [unrolled: 1-line block ×3, first 2 shown]
	v_fmamk_f16 v22, v49, 0x3b9c, v43
	v_add_f16_e32 v18, v20, v18
	v_fmac_f16_e32 v61, 0x38b4, v49
	v_fmac_f16_e32 v46, 0xb8b4, v49
	;; [unrolled: 1-line block ×3, first 2 shown]
	v_add_f16_e32 v17, v17, v34
	v_fmac_f16_e32 v19, 0x34f2, v53
	v_add_f16_e32 v51, v71, v73
	v_fmamk_f16 v55, v40, 0x3b9c, v29
	v_fmac_f16_e32 v29, 0xbb9c, v40
	v_add_f16_e32 v37, v37, v74
	v_add_f16_e32 v20, v45, v76
	v_fmac_f16_e32 v66, 0xb8b4, v62
	v_fmac_f16_e32 v60, 0x38b4, v62
	;; [unrolled: 1-line block ×13, first 2 shown]
	v_add_f16_e32 v24, v18, v17
	v_sub_f16_e32 v17, v18, v17
	v_mul_f16_e32 v18, 0xb8b4, v19
	v_mul_f16_e32 v19, 0x3a79, v19
	v_fmac_f16_e32 v55, 0xb8b4, v39
	v_fmac_f16_e32 v29, 0x38b4, v39
	;; [unrolled: 1-line block ×4, first 2 shown]
	v_add_f16_e32 v21, v37, v20
	v_sub_f16_e32 v20, v37, v20
	v_mul_f16_e32 v34, 0xbb9c, v67
	v_mul_f16_e32 v37, 0xbb9c, v23
	;; [unrolled: 1-line block ×4, first 2 shown]
	v_fmac_f16_e32 v43, 0xb8b4, v50
	v_fmac_f16_e32 v54, 0x34f2, v41
	;; [unrolled: 1-line block ×4, first 2 shown]
	v_mul_f16_e32 v39, 0xb8b4, v52
	v_mul_f16_e32 v41, 0xba79, v52
	v_fmac_f16_e32 v22, 0x34f2, v44
	v_fmac_f16_e32 v18, 0x3a79, v65
	;; [unrolled: 1-line block ×12, first 2 shown]
	v_pack_b32_f16 v17, v20, v17
	v_add_f16_e32 v20, v54, v18
	v_add_f16_e32 v45, v22, v19
	v_pack_b32_f16 v21, v21, v24
	v_add_f16_e32 v24, v55, v34
	v_add_f16_e32 v42, v29, v37
	;; [unrolled: 1-line block ×6, first 2 shown]
	v_sub_f16_e32 v18, v54, v18
	v_sub_f16_e32 v34, v55, v34
	;; [unrolled: 1-line block ×8, first 2 shown]
	v_pack_b32_f16 v20, v20, v45
	v_pack_b32_f16 v24, v24, v47
	;; [unrolled: 1-line block ×8, first 2 shown]
	ds_write2_b32 v4, v21, v20 offset1:160
	ds_write2_b32 v56, v24, v39 offset0:64 offset1:224
	ds_write2_b32 v57, v40, v17 offset1:160
	ds_write2_b32 v58, v18, v19 offset0:64 offset1:224
	ds_write2_b32 v59, v22, v23 offset1:160
	s_and_saveexec_b32 s1, s0
	s_cbranch_execz .LBB0_25
; %bb.24:
	v_add_nc_u32_e32 v17, 0x64, v3
	v_subrev_nc_u32_e32 v18, 60, v3
	v_add_nc_u32_e32 v34, 0x100, v4
	v_add_nc_u32_e32 v39, 0x1000, v4
	v_cndmask_b32_e64 v17, v18, v17, s0
	v_mov_b32_e32 v18, 0
	v_mul_i32_i24_e32 v17, 9, v17
	v_lshlrev_b64 v[17:18], 2, v[17:18]
	v_add_co_u32 v37, s0, s12, v17
	v_add_co_ci_u32_e64 v38, s0, s13, v18, s0
	s_clause 0x2
	global_load_dwordx4 v[17:20], v[37:38], off offset:600
	global_load_dwordx4 v[21:24], v[37:38], off offset:616
	global_load_dword v29, v[37:38], off offset:632
	v_add_nc_u32_e32 v37, 0x600, v4
	v_add_nc_u32_e32 v38, 0xb00, v4
	;; [unrolled: 1-line block ×3, first 2 shown]
	s_waitcnt vmcnt(2)
	v_mul_f16_sdwa v40, v13, v18 dst_sel:DWORD dst_unused:UNUSED_PAD src0_sel:DWORD src1_sel:WORD_1
	v_mul_f16_sdwa v41, v15, v20 dst_sel:DWORD dst_unused:UNUSED_PAD src0_sel:DWORD src1_sel:WORD_1
	s_waitcnt vmcnt(1)
	v_mul_f16_sdwa v42, v9, v24 dst_sel:DWORD dst_unused:UNUSED_PAD src0_sel:DWORD src1_sel:WORD_1
	v_mul_f16_sdwa v43, v7, v22 dst_sel:DWORD dst_unused:UNUSED_PAD src0_sel:DWORD src1_sel:WORD_1
	;; [unrolled: 1-line block ×5, first 2 shown]
	s_waitcnt vmcnt(0)
	v_mul_f16_sdwa v50, v31, v29 dst_sel:DWORD dst_unused:UNUSED_PAD src0_sel:DWORD src1_sel:WORD_1
	v_mul_f16_sdwa v51, v26, v23 dst_sel:DWORD dst_unused:UNUSED_PAD src0_sel:DWORD src1_sel:WORD_1
	;; [unrolled: 1-line block ×11, first 2 shown]
	v_fma_f16 v36, v36, v18, -v40
	v_fma_f16 v33, v33, v20, -v41
	;; [unrolled: 1-line block ×4, first 2 shown]
	v_fmac_f16_e32 v45, v9, v24
	v_fmac_f16_e32 v48, v14, v19
	;; [unrolled: 1-line block ×5, first 2 shown]
	v_fma_f16 v9, v27, v21, -v55
	v_fma_f16 v10, v26, v23, -v56
	v_fmac_f16_e32 v47, v7, v22
	v_fma_f16 v7, v35, v19, -v53
	v_fma_f16 v8, v31, v29, -v54
	v_fmac_f16_e32 v44, v13, v18
	v_fmac_f16_e32 v46, v15, v20
	;; [unrolled: 1-line block ×3, first 2 shown]
	v_fma_f16 v12, v30, v17, -v57
	v_sub_f16_e32 v13, v36, v33
	v_sub_f16_e32 v14, v32, v28
	v_add_f16_e32 v15, v33, v28
	v_sub_f16_e32 v18, v48, v49
	v_sub_f16_e32 v19, v50, v51
	v_add_f16_e32 v20, v49, v51
	v_add_f16_e32 v26, v9, v10
	;; [unrolled: 1-line block ×3, first 2 shown]
	v_sub_f16_e32 v16, v44, v45
	v_sub_f16_e32 v23, v7, v9
	;; [unrolled: 1-line block ×4, first 2 shown]
	v_add_f16_e32 v35, v36, v32
	v_sub_f16_e32 v40, v49, v48
	v_sub_f16_e32 v41, v51, v50
	;; [unrolled: 1-line block ×4, first 2 shown]
	v_add_f16_e32 v62, v44, v45
	v_add_f16_e32 v44, v11, v44
	;; [unrolled: 1-line block ×3, first 2 shown]
	v_fma_f16 v14, -0.5, v15, v25
	v_add_f16_e32 v15, v18, v19
	v_fma_f16 v18, -0.5, v20, v52
	v_fma_f16 v20, -0.5, v26, v12
	v_sub_f16_e32 v21, v7, v8
	v_sub_f16_e32 v29, v49, v51
	;; [unrolled: 1-line block ×4, first 2 shown]
	v_add_f16_e32 v42, v48, v50
	v_sub_f16_e32 v43, v9, v7
	v_add_f16_e32 v55, v25, v36
	v_add_f16_e32 v7, v12, v7
	;; [unrolled: 1-line block ×4, first 2 shown]
	v_fma_f16 v12, -0.5, v54, v12
	v_sub_f16_e32 v53, v10, v8
	v_add_f16_e32 v19, v23, v24
	v_fma_f16 v24, -0.5, v35, v25
	v_add_f16_e32 v25, v40, v41
	v_add_f16_e32 v40, v44, v46
	v_fmamk_f16 v44, v27, 0xbb9c, v20
	v_fmac_f16_e32 v20, 0x3b9c, v27
	v_sub_f16_e32 v17, v46, v47
	v_sub_f16_e32 v22, v9, v10
	;; [unrolled: 1-line block ×4, first 2 shown]
	v_add_f16_e32 v23, v30, v31
	v_fma_f16 v26, -0.5, v42, v52
	v_add_f16_e32 v31, v55, v33
	v_add_f16_e32 v7, v7, v9
	v_fma_f16 v33, -0.5, v58, v11
	v_add_f16_e32 v41, v48, v49
	v_fmamk_f16 v49, v29, 0x3b9c, v12
	v_fmac_f16_e32 v12, 0xbb9c, v29
	v_add_f16_e32 v30, v43, v53
	v_fmamk_f16 v43, v21, 0x3b9c, v18
	v_fmac_f16_e32 v18, 0xbb9c, v21
	v_fmac_f16_e32 v20, 0x38b4, v29
	v_sub_f16_e32 v57, v45, v47
	v_fma_f16 v11, -0.5, v62, v11
	v_fmamk_f16 v42, v16, 0xbb9c, v14
	v_fmamk_f16 v46, v17, 0x3b9c, v24
	;; [unrolled: 1-line block ×3, first 2 shown]
	v_fmac_f16_e32 v24, 0xbb9c, v17
	v_fmac_f16_e32 v26, 0x3b9c, v22
	;; [unrolled: 1-line block ×3, first 2 shown]
	v_add_f16_e32 v28, v31, v28
	v_add_f16_e32 v7, v7, v10
	v_fmamk_f16 v10, v36, 0x3b9c, v33
	v_fmac_f16_e32 v33, 0xbb9c, v36
	v_add_f16_e32 v40, v40, v47
	v_add_f16_e32 v41, v41, v51
	v_fmac_f16_e32 v49, 0xb8b4, v27
	v_fmac_f16_e32 v12, 0x38b4, v27
	v_fmac_f16_e32 v44, 0xb8b4, v29
	v_fmac_f16_e32 v18, 0xb8b4, v22
	v_fmac_f16_e32 v20, 0x34f2, v19
	v_sub_f16_e32 v61, v47, v45
	v_add_f16_e32 v9, v56, v57
	v_fmamk_f16 v31, v59, 0xbb9c, v11
	v_fmac_f16_e32 v11, 0x3b9c, v59
	v_fmac_f16_e32 v42, 0xb8b4, v17
	;; [unrolled: 1-line block ×7, first 2 shown]
	v_add_f16_e32 v16, v28, v32
	v_add_f16_e32 v7, v7, v8
	v_fmac_f16_e32 v10, 0x38b4, v59
	v_fmac_f16_e32 v33, 0xb8b4, v59
	v_add_f16_e32 v8, v40, v45
	v_add_f16_e32 v17, v41, v50
	v_fmac_f16_e32 v49, 0x34f2, v30
	v_fmac_f16_e32 v12, 0x34f2, v30
	;; [unrolled: 1-line block ×5, first 2 shown]
	v_mul_f16_e32 v19, 0x3a79, v20
	v_mul_f16_e32 v20, 0xb8b4, v20
	v_add_f16_e32 v35, v60, v61
	v_fmac_f16_e32 v31, 0x38b4, v36
	v_fmac_f16_e32 v11, 0xb8b4, v36
	;; [unrolled: 1-line block ×6, first 2 shown]
	v_sub_f16_e32 v13, v16, v7
	v_fmac_f16_e32 v10, 0x34f2, v9
	v_fmac_f16_e32 v33, 0x34f2, v9
	v_sub_f16_e32 v9, v8, v17
	v_add_f16_e32 v7, v16, v7
	v_add_f16_e32 v8, v8, v17
	v_mul_f16_e32 v16, 0xb4f2, v49
	v_mul_f16_e32 v17, 0x34f2, v12
	;; [unrolled: 1-line block ×4, first 2 shown]
	v_fmac_f16_e32 v43, 0x34f2, v15
	v_mul_f16_e32 v15, 0xba79, v44
	v_mul_f16_e32 v21, 0xb8b4, v44
	v_fmac_f16_e32 v19, 0x38b4, v18
	v_fmac_f16_e32 v20, 0x3a79, v18
	;; [unrolled: 1-line block ×12, first 2 shown]
	v_sub_f16_e32 v23, v14, v19
	v_add_f16_e32 v14, v14, v19
	v_add_f16_e32 v19, v33, v20
	v_pack_b32_f16 v7, v8, v7
	v_pack_b32_f16 v8, v9, v13
	v_sub_f16_e32 v13, v46, v16
	v_sub_f16_e32 v18, v24, v17
	;; [unrolled: 1-line block ×3, first 2 shown]
	v_add_f16_e32 v16, v46, v16
	v_add_f16_e32 v17, v24, v17
	;; [unrolled: 1-line block ×4, first 2 shown]
	v_sub_f16_e32 v9, v42, v15
	v_sub_f16_e32 v25, v10, v21
	v_add_f16_e32 v15, v42, v15
	v_add_f16_e32 v10, v10, v21
	v_sub_f16_e32 v20, v33, v20
	v_sub_f16_e32 v26, v31, v22
	v_pack_b32_f16 v14, v19, v14
	v_pack_b32_f16 v11, v11, v17
	;; [unrolled: 1-line block ×8, first 2 shown]
	ds_write2_b32 v34, v7, v14 offset0:36 offset1:196
	ds_write2_b32 v37, v11, v12 offset0:36 offset1:196
	ds_write2_b32 v38, v10, v8 offset0:36 offset1:196
	ds_write2_b32 v39, v15, v16 offset0:36 offset1:196
	ds_write2_b32 v4, v13, v9 offset0:36 offset1:196
.LBB0_25:
	s_or_b32 exec_lo, exec_lo, s1
	s_waitcnt lgkmcnt(0)
	s_barrier
	buffer_gl0_inv
	s_and_saveexec_b32 s0, vcc_lo
	s_cbranch_execz .LBB0_27
; %bb.26:
	v_mul_lo_u32 v7, s3, v5
	v_mul_lo_u32 v8, s2, v6
	v_mad_u64_u32 v[5:6], null, s2, v5, 0
	v_lshl_add_u32 v19, v3, 2, v0
	v_mov_b32_e32 v4, 0
	v_lshlrev_b64 v[0:1], 2, v[1:2]
	v_add_nc_u32_e32 v9, 0xc8, v3
	v_add_nc_u32_e32 v17, 0x2bc, v3
	;; [unrolled: 1-line block ×3, first 2 shown]
	v_add3_u32 v6, v6, v8, v7
	ds_read2_b32 v[11:12], v19 offset1:100
	v_add_nc_u32_e32 v7, 0x64, v3
	v_mov_b32_e32 v8, v4
	v_lshlrev_b64 v[13:14], 2, v[3:4]
	v_lshlrev_b64 v[5:6], 2, v[5:6]
	v_mov_b32_e32 v10, v4
	v_mov_b32_e32 v18, v4
	v_lshlrev_b64 v[9:10], 2, v[9:10]
	v_add_co_u32 v15, vcc_lo, s10, v5
	v_add_co_ci_u32_e32 v16, vcc_lo, s11, v6, vcc_lo
	ds_read2_b32 v[5:6], v2 offset0:72 offset1:172
	v_add_co_u32 v20, vcc_lo, v15, v0
	v_add_co_ci_u32_e32 v21, vcc_lo, v16, v1, vcc_lo
	v_lshlrev_b64 v[0:1], 2, v[7:8]
	v_add_co_u32 v7, vcc_lo, v20, v13
	v_add_co_ci_u32_e32 v8, vcc_lo, v21, v14, vcc_lo
	v_add_nc_u32_e32 v13, 0x12c, v3
	v_add_co_u32 v0, vcc_lo, v20, v0
	v_add_co_ci_u32_e32 v1, vcc_lo, v21, v1, vcc_lo
	v_add_co_u32 v9, vcc_lo, v20, v9
	v_add_co_ci_u32_e32 v10, vcc_lo, v21, v10, vcc_lo
	v_mov_b32_e32 v14, v4
	v_add_nc_u32_e32 v2, 0x400, v19
	s_waitcnt lgkmcnt(1)
	global_store_dword v[7:8], v11, off
	global_store_dword v[0:1], v12, off
	s_waitcnt lgkmcnt(0)
	global_store_dword v[9:10], v5, off
	v_add_nc_u32_e32 v5, 0x800, v19
	v_add_nc_u32_e32 v7, 0x190, v3
	v_mov_b32_e32 v8, v4
	v_lshlrev_b64 v[0:1], 2, v[13:14]
	ds_read2_b32 v[11:12], v2 offset0:144 offset1:244
	v_add_nc_u32_e32 v9, 0x1f4, v3
	v_mov_b32_e32 v10, v4
	ds_read2_b32 v[15:16], v5 offset0:88 offset1:188
	v_lshlrev_b64 v[7:8], 2, v[7:8]
	v_add_nc_u32_e32 v13, 0x258, v3
	v_add_co_u32 v0, vcc_lo, v20, v0
	v_lshlrev_b64 v[9:10], 2, v[9:10]
	v_add_co_ci_u32_e32 v1, vcc_lo, v21, v1, vcc_lo
	v_add_co_u32 v7, vcc_lo, v20, v7
	v_lshlrev_b64 v[13:14], 2, v[13:14]
	v_add_co_ci_u32_e32 v8, vcc_lo, v21, v8, vcc_lo
	v_add_co_u32 v9, vcc_lo, v20, v9
	v_add_co_ci_u32_e32 v10, vcc_lo, v21, v10, vcc_lo
	v_add_co_u32 v13, vcc_lo, v20, v13
	v_add_co_ci_u32_e32 v14, vcc_lo, v21, v14, vcc_lo
	v_add_nc_u32_e32 v2, 0xc00, v19
	global_store_dword v[0:1], v6, off
	s_waitcnt lgkmcnt(1)
	global_store_dword v[7:8], v11, off
	global_store_dword v[9:10], v12, off
	s_waitcnt lgkmcnt(0)
	global_store_dword v[13:14], v15, off
	v_add_nc_u32_e32 v12, 0xe00, v19
	v_add_nc_u32_e32 v5, 0x320, v3
	v_mov_b32_e32 v6, v4
	v_lshlrev_b64 v[0:1], 2, v[17:18]
	ds_read2_b32 v[9:10], v2 offset0:32 offset1:132
	v_add_nc_u32_e32 v7, 0x384, v3
	v_mov_b32_e32 v8, v4
	ds_read2_b32 v[13:14], v12 offset0:104 offset1:204
	v_lshlrev_b64 v[5:6], 2, v[5:6]
	v_add_nc_u32_e32 v11, 0x3e8, v3
	v_mov_b32_e32 v12, v4
	v_add_co_u32 v0, vcc_lo, v20, v0
	v_lshlrev_b64 v[7:8], 2, v[7:8]
	v_add_co_ci_u32_e32 v1, vcc_lo, v21, v1, vcc_lo
	v_add_co_u32 v5, vcc_lo, v20, v5
	v_lshlrev_b64 v[11:12], 2, v[11:12]
	v_add_co_ci_u32_e32 v6, vcc_lo, v21, v6, vcc_lo
	v_add_co_u32 v7, vcc_lo, v20, v7
	v_add_co_ci_u32_e32 v8, vcc_lo, v21, v8, vcc_lo
	v_add_co_u32 v11, vcc_lo, v20, v11
	v_add_nc_u32_e32 v2, 0x1200, v19
	v_add_nc_u32_e32 v17, 0x44c, v3
	v_add_co_ci_u32_e32 v12, vcc_lo, v21, v12, vcc_lo
	global_store_dword v[0:1], v16, off
	s_waitcnt lgkmcnt(1)
	global_store_dword v[5:6], v9, off
	global_store_dword v[7:8], v10, off
	s_waitcnt lgkmcnt(0)
	global_store_dword v[11:12], v13, off
	v_add_nc_u32_e32 v5, 0x4b0, v3
	v_mov_b32_e32 v6, v4
	ds_read2_b32 v[9:10], v2 offset0:48 offset1:148
	v_add_nc_u32_e32 v2, 0x1400, v19
	v_lshlrev_b64 v[0:1], 2, v[17:18]
	v_add_nc_u32_e32 v7, 0x514, v3
	v_mov_b32_e32 v8, v4
	v_lshlrev_b64 v[5:6], 2, v[5:6]
	v_add_nc_u32_e32 v11, 0x578, v3
	v_mov_b32_e32 v12, v4
	ds_read2_b32 v[15:16], v2 offset0:120 offset1:220
	v_add_co_u32 v0, vcc_lo, v20, v0
	v_lshlrev_b64 v[7:8], 2, v[7:8]
	v_add_nc_u32_e32 v3, 0x5dc, v3
	v_add_co_ci_u32_e32 v1, vcc_lo, v21, v1, vcc_lo
	v_add_co_u32 v5, vcc_lo, v20, v5
	v_lshlrev_b64 v[11:12], 2, v[11:12]
	v_add_co_ci_u32_e32 v6, vcc_lo, v21, v6, vcc_lo
	v_add_co_u32 v7, vcc_lo, v20, v7
	v_lshlrev_b64 v[2:3], 2, v[3:4]
	v_add_co_ci_u32_e32 v8, vcc_lo, v21, v8, vcc_lo
	v_add_co_u32 v11, vcc_lo, v20, v11
	v_add_co_ci_u32_e32 v12, vcc_lo, v21, v12, vcc_lo
	v_add_co_u32 v2, vcc_lo, v20, v2
	v_add_co_ci_u32_e32 v3, vcc_lo, v21, v3, vcc_lo
	global_store_dword v[0:1], v14, off
	s_waitcnt lgkmcnt(1)
	global_store_dword v[5:6], v9, off
	global_store_dword v[7:8], v10, off
	s_waitcnt lgkmcnt(0)
	global_store_dword v[11:12], v15, off
	global_store_dword v[2:3], v16, off
.LBB0_27:
	s_endpgm
	.section	.rodata,"a",@progbits
	.p2align	6, 0x0
	.amdhsa_kernel fft_rtc_back_len1600_factors_10_16_10_wgs_200_tpt_100_halfLds_half_op_CI_CI_unitstride_sbrr_C2R_dirReg
		.amdhsa_group_segment_fixed_size 0
		.amdhsa_private_segment_fixed_size 0
		.amdhsa_kernarg_size 104
		.amdhsa_user_sgpr_count 6
		.amdhsa_user_sgpr_private_segment_buffer 1
		.amdhsa_user_sgpr_dispatch_ptr 0
		.amdhsa_user_sgpr_queue_ptr 0
		.amdhsa_user_sgpr_kernarg_segment_ptr 1
		.amdhsa_user_sgpr_dispatch_id 0
		.amdhsa_user_sgpr_flat_scratch_init 0
		.amdhsa_user_sgpr_private_segment_size 0
		.amdhsa_wavefront_size32 1
		.amdhsa_uses_dynamic_stack 0
		.amdhsa_system_sgpr_private_segment_wavefront_offset 0
		.amdhsa_system_sgpr_workgroup_id_x 1
		.amdhsa_system_sgpr_workgroup_id_y 0
		.amdhsa_system_sgpr_workgroup_id_z 0
		.amdhsa_system_sgpr_workgroup_info 0
		.amdhsa_system_vgpr_workitem_id 0
		.amdhsa_next_free_vgpr 106
		.amdhsa_next_free_sgpr 27
		.amdhsa_reserve_vcc 1
		.amdhsa_reserve_flat_scratch 0
		.amdhsa_float_round_mode_32 0
		.amdhsa_float_round_mode_16_64 0
		.amdhsa_float_denorm_mode_32 3
		.amdhsa_float_denorm_mode_16_64 3
		.amdhsa_dx10_clamp 1
		.amdhsa_ieee_mode 1
		.amdhsa_fp16_overflow 0
		.amdhsa_workgroup_processor_mode 1
		.amdhsa_memory_ordered 1
		.amdhsa_forward_progress 0
		.amdhsa_shared_vgpr_count 0
		.amdhsa_exception_fp_ieee_invalid_op 0
		.amdhsa_exception_fp_denorm_src 0
		.amdhsa_exception_fp_ieee_div_zero 0
		.amdhsa_exception_fp_ieee_overflow 0
		.amdhsa_exception_fp_ieee_underflow 0
		.amdhsa_exception_fp_ieee_inexact 0
		.amdhsa_exception_int_div_zero 0
	.end_amdhsa_kernel
	.text
.Lfunc_end0:
	.size	fft_rtc_back_len1600_factors_10_16_10_wgs_200_tpt_100_halfLds_half_op_CI_CI_unitstride_sbrr_C2R_dirReg, .Lfunc_end0-fft_rtc_back_len1600_factors_10_16_10_wgs_200_tpt_100_halfLds_half_op_CI_CI_unitstride_sbrr_C2R_dirReg
                                        ; -- End function
	.section	.AMDGPU.csdata,"",@progbits
; Kernel info:
; codeLenInByte = 11344
; NumSgprs: 29
; NumVgprs: 106
; ScratchSize: 0
; MemoryBound: 0
; FloatMode: 240
; IeeeMode: 1
; LDSByteSize: 0 bytes/workgroup (compile time only)
; SGPRBlocks: 3
; VGPRBlocks: 13
; NumSGPRsForWavesPerEU: 29
; NumVGPRsForWavesPerEU: 106
; Occupancy: 9
; WaveLimiterHint : 1
; COMPUTE_PGM_RSRC2:SCRATCH_EN: 0
; COMPUTE_PGM_RSRC2:USER_SGPR: 6
; COMPUTE_PGM_RSRC2:TRAP_HANDLER: 0
; COMPUTE_PGM_RSRC2:TGID_X_EN: 1
; COMPUTE_PGM_RSRC2:TGID_Y_EN: 0
; COMPUTE_PGM_RSRC2:TGID_Z_EN: 0
; COMPUTE_PGM_RSRC2:TIDIG_COMP_CNT: 0
	.text
	.p2alignl 6, 3214868480
	.fill 48, 4, 3214868480
	.type	__hip_cuid_500b25ef7fc01de7,@object ; @__hip_cuid_500b25ef7fc01de7
	.section	.bss,"aw",@nobits
	.globl	__hip_cuid_500b25ef7fc01de7
__hip_cuid_500b25ef7fc01de7:
	.byte	0                               ; 0x0
	.size	__hip_cuid_500b25ef7fc01de7, 1

	.ident	"AMD clang version 19.0.0git (https://github.com/RadeonOpenCompute/llvm-project roc-6.4.0 25133 c7fe45cf4b819c5991fe208aaa96edf142730f1d)"
	.section	".note.GNU-stack","",@progbits
	.addrsig
	.addrsig_sym __hip_cuid_500b25ef7fc01de7
	.amdgpu_metadata
---
amdhsa.kernels:
  - .args:
      - .actual_access:  read_only
        .address_space:  global
        .offset:         0
        .size:           8
        .value_kind:     global_buffer
      - .offset:         8
        .size:           8
        .value_kind:     by_value
      - .actual_access:  read_only
        .address_space:  global
        .offset:         16
        .size:           8
        .value_kind:     global_buffer
      - .actual_access:  read_only
        .address_space:  global
        .offset:         24
        .size:           8
        .value_kind:     global_buffer
      - .actual_access:  read_only
        .address_space:  global
        .offset:         32
        .size:           8
        .value_kind:     global_buffer
      - .offset:         40
        .size:           8
        .value_kind:     by_value
      - .actual_access:  read_only
        .address_space:  global
        .offset:         48
        .size:           8
        .value_kind:     global_buffer
      - .actual_access:  read_only
        .address_space:  global
        .offset:         56
        .size:           8
        .value_kind:     global_buffer
      - .offset:         64
        .size:           4
        .value_kind:     by_value
      - .actual_access:  read_only
        .address_space:  global
        .offset:         72
        .size:           8
        .value_kind:     global_buffer
      - .actual_access:  read_only
        .address_space:  global
        .offset:         80
        .size:           8
        .value_kind:     global_buffer
      - .actual_access:  read_only
        .address_space:  global
        .offset:         88
        .size:           8
        .value_kind:     global_buffer
      - .actual_access:  write_only
        .address_space:  global
        .offset:         96
        .size:           8
        .value_kind:     global_buffer
    .group_segment_fixed_size: 0
    .kernarg_segment_align: 8
    .kernarg_segment_size: 104
    .language:       OpenCL C
    .language_version:
      - 2
      - 0
    .max_flat_workgroup_size: 200
    .name:           fft_rtc_back_len1600_factors_10_16_10_wgs_200_tpt_100_halfLds_half_op_CI_CI_unitstride_sbrr_C2R_dirReg
    .private_segment_fixed_size: 0
    .sgpr_count:     29
    .sgpr_spill_count: 0
    .symbol:         fft_rtc_back_len1600_factors_10_16_10_wgs_200_tpt_100_halfLds_half_op_CI_CI_unitstride_sbrr_C2R_dirReg.kd
    .uniform_work_group_size: 1
    .uses_dynamic_stack: false
    .vgpr_count:     106
    .vgpr_spill_count: 0
    .wavefront_size: 32
    .workgroup_processor_mode: 1
amdhsa.target:   amdgcn-amd-amdhsa--gfx1030
amdhsa.version:
  - 1
  - 2
...

	.end_amdgpu_metadata
